;; amdgpu-corpus repo=ROCm/rocFFT kind=compiled arch=gfx1030 opt=O3
	.text
	.amdgcn_target "amdgcn-amd-amdhsa--gfx1030"
	.amdhsa_code_object_version 6
	.protected	fft_rtc_fwd_len1456_factors_13_4_7_2_2_wgs_182_tpt_182_halfLds_sp_op_CI_CI_unitstride_sbrr_dirReg ; -- Begin function fft_rtc_fwd_len1456_factors_13_4_7_2_2_wgs_182_tpt_182_halfLds_sp_op_CI_CI_unitstride_sbrr_dirReg
	.globl	fft_rtc_fwd_len1456_factors_13_4_7_2_2_wgs_182_tpt_182_halfLds_sp_op_CI_CI_unitstride_sbrr_dirReg
	.p2align	8
	.type	fft_rtc_fwd_len1456_factors_13_4_7_2_2_wgs_182_tpt_182_halfLds_sp_op_CI_CI_unitstride_sbrr_dirReg,@function
fft_rtc_fwd_len1456_factors_13_4_7_2_2_wgs_182_tpt_182_halfLds_sp_op_CI_CI_unitstride_sbrr_dirReg: ; @fft_rtc_fwd_len1456_factors_13_4_7_2_2_wgs_182_tpt_182_halfLds_sp_op_CI_CI_unitstride_sbrr_dirReg
; %bb.0:
	s_clause 0x2
	s_load_dwordx4 s[12:15], s[4:5], 0x0
	s_load_dwordx4 s[8:11], s[4:5], 0x58
	;; [unrolled: 1-line block ×3, first 2 shown]
	v_mul_u32_u24_e32 v2, 0x169, v0
	v_mov_b32_e32 v1, 0
	v_mov_b32_e32 v14, 0
	;; [unrolled: 1-line block ×3, first 2 shown]
	v_add_nc_u32_sdwa v3, s6, v2 dst_sel:DWORD dst_unused:UNUSED_PAD src0_sel:DWORD src1_sel:WORD_1
	v_mov_b32_e32 v4, v1
	s_waitcnt lgkmcnt(0)
	v_cmp_lt_u64_e64 s0, s[14:15], 2
	s_and_b32 vcc_lo, exec_lo, s0
	s_cbranch_vccnz .LBB0_8
; %bb.1:
	s_load_dwordx2 s[0:1], s[4:5], 0x10
	v_mov_b32_e32 v14, 0
	v_mov_b32_e32 v15, 0
	s_add_u32 s2, s18, 8
	s_addc_u32 s3, s19, 0
	v_mov_b32_e32 v8, v14
	s_add_u32 s6, s16, 8
	v_mov_b32_e32 v9, v15
	s_addc_u32 s7, s17, 0
	s_mov_b64 s[22:23], 1
	s_waitcnt lgkmcnt(0)
	s_add_u32 s20, s0, 8
	s_addc_u32 s21, s1, 0
.LBB0_2:                                ; =>This Inner Loop Header: Depth=1
	s_load_dwordx2 s[24:25], s[20:21], 0x0
                                        ; implicit-def: $vgpr10_vgpr11
	s_mov_b32 s0, exec_lo
	s_waitcnt lgkmcnt(0)
	v_or_b32_e32 v2, s25, v4
	v_cmpx_ne_u64_e32 0, v[1:2]
	s_xor_b32 s1, exec_lo, s0
	s_cbranch_execz .LBB0_4
; %bb.3:                                ;   in Loop: Header=BB0_2 Depth=1
	v_cvt_f32_u32_e32 v2, s24
	v_cvt_f32_u32_e32 v5, s25
	s_sub_u32 s0, 0, s24
	s_subb_u32 s26, 0, s25
	v_fmac_f32_e32 v2, 0x4f800000, v5
	v_rcp_f32_e32 v2, v2
	v_mul_f32_e32 v2, 0x5f7ffffc, v2
	v_mul_f32_e32 v5, 0x2f800000, v2
	v_trunc_f32_e32 v5, v5
	v_fmac_f32_e32 v2, 0xcf800000, v5
	v_cvt_u32_f32_e32 v5, v5
	v_cvt_u32_f32_e32 v2, v2
	v_mul_lo_u32 v6, s0, v5
	v_mul_hi_u32 v7, s0, v2
	v_mul_lo_u32 v10, s26, v2
	v_add_nc_u32_e32 v6, v7, v6
	v_mul_lo_u32 v7, s0, v2
	v_add_nc_u32_e32 v6, v6, v10
	v_mul_hi_u32 v10, v2, v7
	v_mul_lo_u32 v11, v2, v6
	v_mul_hi_u32 v12, v2, v6
	v_mul_hi_u32 v13, v5, v7
	v_mul_lo_u32 v7, v5, v7
	v_mul_hi_u32 v16, v5, v6
	v_mul_lo_u32 v6, v5, v6
	v_add_co_u32 v10, vcc_lo, v10, v11
	v_add_co_ci_u32_e32 v11, vcc_lo, 0, v12, vcc_lo
	v_add_co_u32 v7, vcc_lo, v10, v7
	v_add_co_ci_u32_e32 v7, vcc_lo, v11, v13, vcc_lo
	v_add_co_ci_u32_e32 v10, vcc_lo, 0, v16, vcc_lo
	v_add_co_u32 v6, vcc_lo, v7, v6
	v_add_co_ci_u32_e32 v7, vcc_lo, 0, v10, vcc_lo
	v_add_co_u32 v2, vcc_lo, v2, v6
	v_add_co_ci_u32_e32 v5, vcc_lo, v5, v7, vcc_lo
	v_mul_hi_u32 v6, s0, v2
	v_mul_lo_u32 v10, s26, v2
	v_mul_lo_u32 v7, s0, v5
	v_add_nc_u32_e32 v6, v6, v7
	v_mul_lo_u32 v7, s0, v2
	v_add_nc_u32_e32 v6, v6, v10
	v_mul_hi_u32 v10, v2, v7
	v_mul_lo_u32 v11, v2, v6
	v_mul_hi_u32 v12, v2, v6
	v_mul_hi_u32 v13, v5, v7
	v_mul_lo_u32 v7, v5, v7
	v_mul_hi_u32 v16, v5, v6
	v_mul_lo_u32 v6, v5, v6
	v_add_co_u32 v10, vcc_lo, v10, v11
	v_add_co_ci_u32_e32 v11, vcc_lo, 0, v12, vcc_lo
	v_add_co_u32 v7, vcc_lo, v10, v7
	v_add_co_ci_u32_e32 v7, vcc_lo, v11, v13, vcc_lo
	v_add_co_ci_u32_e32 v10, vcc_lo, 0, v16, vcc_lo
	v_add_co_u32 v6, vcc_lo, v7, v6
	v_add_co_ci_u32_e32 v7, vcc_lo, 0, v10, vcc_lo
	v_add_co_u32 v2, vcc_lo, v2, v6
	v_add_co_ci_u32_e32 v7, vcc_lo, v5, v7, vcc_lo
	v_mul_hi_u32 v16, v3, v2
	v_mad_u64_u32 v[10:11], null, v4, v2, 0
	v_mad_u64_u32 v[5:6], null, v3, v7, 0
	;; [unrolled: 1-line block ×3, first 2 shown]
	v_add_co_u32 v2, vcc_lo, v16, v5
	v_add_co_ci_u32_e32 v5, vcc_lo, 0, v6, vcc_lo
	v_add_co_u32 v2, vcc_lo, v2, v10
	v_add_co_ci_u32_e32 v2, vcc_lo, v5, v11, vcc_lo
	v_add_co_ci_u32_e32 v5, vcc_lo, 0, v13, vcc_lo
	v_add_co_u32 v2, vcc_lo, v2, v12
	v_add_co_ci_u32_e32 v7, vcc_lo, 0, v5, vcc_lo
	v_mul_lo_u32 v10, s25, v2
	v_mad_u64_u32 v[5:6], null, s24, v2, 0
	v_mul_lo_u32 v11, s24, v7
	v_sub_co_u32 v5, vcc_lo, v3, v5
	v_add3_u32 v6, v6, v11, v10
	v_sub_nc_u32_e32 v10, v4, v6
	v_subrev_co_ci_u32_e64 v10, s0, s25, v10, vcc_lo
	v_add_co_u32 v11, s0, v2, 2
	v_add_co_ci_u32_e64 v12, s0, 0, v7, s0
	v_sub_co_u32 v13, s0, v5, s24
	v_sub_co_ci_u32_e32 v6, vcc_lo, v4, v6, vcc_lo
	v_subrev_co_ci_u32_e64 v10, s0, 0, v10, s0
	v_cmp_le_u32_e32 vcc_lo, s24, v13
	v_cmp_eq_u32_e64 s0, s25, v6
	v_cndmask_b32_e64 v13, 0, -1, vcc_lo
	v_cmp_le_u32_e32 vcc_lo, s25, v10
	v_cndmask_b32_e64 v16, 0, -1, vcc_lo
	v_cmp_le_u32_e32 vcc_lo, s24, v5
	;; [unrolled: 2-line block ×3, first 2 shown]
	v_cndmask_b32_e64 v17, 0, -1, vcc_lo
	v_cmp_eq_u32_e32 vcc_lo, s25, v10
	v_cndmask_b32_e64 v5, v17, v5, s0
	v_cndmask_b32_e32 v10, v16, v13, vcc_lo
	v_add_co_u32 v13, vcc_lo, v2, 1
	v_add_co_ci_u32_e32 v16, vcc_lo, 0, v7, vcc_lo
	v_cmp_ne_u32_e32 vcc_lo, 0, v10
	v_cndmask_b32_e32 v6, v16, v12, vcc_lo
	v_cndmask_b32_e32 v10, v13, v11, vcc_lo
	v_cmp_ne_u32_e32 vcc_lo, 0, v5
	v_cndmask_b32_e32 v11, v7, v6, vcc_lo
	v_cndmask_b32_e32 v10, v2, v10, vcc_lo
.LBB0_4:                                ;   in Loop: Header=BB0_2 Depth=1
	s_andn2_saveexec_b32 s0, s1
	s_cbranch_execz .LBB0_6
; %bb.5:                                ;   in Loop: Header=BB0_2 Depth=1
	v_cvt_f32_u32_e32 v2, s24
	s_sub_i32 s1, 0, s24
	v_mov_b32_e32 v11, v1
	v_rcp_iflag_f32_e32 v2, v2
	v_mul_f32_e32 v2, 0x4f7ffffe, v2
	v_cvt_u32_f32_e32 v2, v2
	v_mul_lo_u32 v5, s1, v2
	v_mul_hi_u32 v5, v2, v5
	v_add_nc_u32_e32 v2, v2, v5
	v_mul_hi_u32 v2, v3, v2
	v_mul_lo_u32 v5, v2, s24
	v_add_nc_u32_e32 v6, 1, v2
	v_sub_nc_u32_e32 v5, v3, v5
	v_subrev_nc_u32_e32 v7, s24, v5
	v_cmp_le_u32_e32 vcc_lo, s24, v5
	v_cndmask_b32_e32 v5, v5, v7, vcc_lo
	v_cndmask_b32_e32 v2, v2, v6, vcc_lo
	v_cmp_le_u32_e32 vcc_lo, s24, v5
	v_add_nc_u32_e32 v6, 1, v2
	v_cndmask_b32_e32 v10, v2, v6, vcc_lo
.LBB0_6:                                ;   in Loop: Header=BB0_2 Depth=1
	s_or_b32 exec_lo, exec_lo, s0
	v_mul_lo_u32 v2, v11, s24
	v_mul_lo_u32 v7, v10, s25
	s_load_dwordx2 s[0:1], s[6:7], 0x0
	v_mad_u64_u32 v[5:6], null, v10, s24, 0
	s_load_dwordx2 s[24:25], s[2:3], 0x0
	s_add_u32 s22, s22, 1
	s_addc_u32 s23, s23, 0
	s_add_u32 s2, s2, 8
	s_addc_u32 s3, s3, 0
	s_add_u32 s6, s6, 8
	v_add3_u32 v2, v6, v7, v2
	v_sub_co_u32 v3, vcc_lo, v3, v5
	s_addc_u32 s7, s7, 0
	s_add_u32 s20, s20, 8
	v_sub_co_ci_u32_e32 v2, vcc_lo, v4, v2, vcc_lo
	s_addc_u32 s21, s21, 0
	s_waitcnt lgkmcnt(0)
	v_mul_lo_u32 v4, s0, v2
	v_mul_lo_u32 v5, s1, v3
	v_mad_u64_u32 v[14:15], null, s0, v3, v[14:15]
	v_mul_lo_u32 v2, s24, v2
	v_mul_lo_u32 v6, s25, v3
	v_mad_u64_u32 v[8:9], null, s24, v3, v[8:9]
	v_cmp_ge_u64_e64 s0, s[22:23], s[14:15]
	v_add3_u32 v15, v5, v15, v4
	v_add3_u32 v9, v6, v9, v2
	s_and_b32 vcc_lo, exec_lo, s0
	s_cbranch_vccnz .LBB0_9
; %bb.7:                                ;   in Loop: Header=BB0_2 Depth=1
	v_mov_b32_e32 v3, v10
	v_mov_b32_e32 v4, v11
	s_branch .LBB0_2
.LBB0_8:
	v_mov_b32_e32 v8, v14
	v_mov_b32_e32 v11, v4
	;; [unrolled: 1-line block ×4, first 2 shown]
.LBB0_9:
	s_load_dwordx2 s[0:1], s[4:5], 0x28
	v_mul_hi_u32 v1, 0x1681682, v0
	s_lshl_b64 s[4:5], s[14:15], 3
                                        ; implicit-def: $vgpr37
                                        ; implicit-def: $vgpr35
                                        ; implicit-def: $vgpr33
                                        ; implicit-def: $vgpr31
                                        ; implicit-def: $vgpr29
                                        ; implicit-def: $vgpr27
                                        ; implicit-def: $vgpr25
                                        ; implicit-def: $vgpr23
                                        ; implicit-def: $vgpr21
                                        ; implicit-def: $vgpr3
                                        ; implicit-def: $vgpr5
                                        ; implicit-def: $vgpr7
	s_add_u32 s2, s18, s4
	s_addc_u32 s3, s19, s5
	v_mul_u32_u24_e32 v1, 0xb6, v1
	v_sub_nc_u32_e32 v12, v0, v1
	v_mov_b32_e32 v1, 0
	v_mov_b32_e32 v0, 0
	s_waitcnt lgkmcnt(0)
	v_cmp_gt_u64_e32 vcc_lo, s[0:1], v[10:11]
	v_cmp_gt_u32_e64 s0, 0x70, v12
	s_and_b32 s1, vcc_lo, s0
	s_and_saveexec_b32 s6, s1
	s_cbranch_execz .LBB0_11
; %bb.10:
	s_add_u32 s4, s16, s4
	s_addc_u32 s5, s17, s5
	v_mov_b32_e32 v13, 0
	s_load_dwordx2 s[4:5], s[4:5], 0x0
	v_or_b32_e32 v4, 0x380, v12
	v_mov_b32_e32 v5, v13
	v_lshlrev_b64 v[6:7], 3, v[12:13]
	s_waitcnt lgkmcnt(0)
	v_mul_lo_u32 v2, s5, v10
	v_mul_lo_u32 v3, s4, v11
	v_mad_u64_u32 v[0:1], null, s4, v10, 0
	v_add3_u32 v1, v1, v3, v2
	v_lshlrev_b64 v[2:3], 3, v[14:15]
	v_lshlrev_b64 v[0:1], 3, v[0:1]
	v_add_co_u32 v0, s1, s8, v0
	v_add_co_ci_u32_e64 v1, s1, s9, v1, s1
	v_add_co_u32 v13, s1, v0, v2
	v_add_co_ci_u32_e64 v14, s1, v1, v3, s1
	v_lshlrev_b64 v[0:1], 3, v[4:5]
	v_add_co_u32 v2, s1, v13, v6
	v_add_co_ci_u32_e64 v3, s1, v14, v7, s1
	v_add_co_u32 v4, s1, v13, v0
	v_add_co_ci_u32_e64 v5, s1, v14, v1, s1
	;; [unrolled: 2-line block ×7, first 2 shown]
	s_clause 0xc
	global_load_dwordx2 v[0:1], v[2:3], off
	global_load_dwordx2 v[36:37], v[2:3], off offset:896
	global_load_dwordx2 v[34:35], v[2:3], off offset:1792
	;; [unrolled: 1-line block ×9, first 2 shown]
	global_load_dwordx2 v[22:23], v[4:5], off
	global_load_dwordx2 v[20:21], v[15:16], off offset:1920
	global_load_dwordx2 v[4:5], v[38:39], off offset:512
.LBB0_11:
	s_or_b32 exec_lo, exec_lo, s6
	s_waitcnt vmcnt(0)
	v_add_f32_e32 v56, v36, v4
	v_sub_f32_e32 v50, v37, v5
	v_add_f32_e32 v59, v34, v2
	v_sub_f32_e32 v51, v35, v3
	v_add_f32_e32 v61, v32, v6
	v_mul_f32_e32 v39, 0x3f62ad3f, v56
	v_mul_f32_e32 v19, 0x3f116cb1, v56
	;; [unrolled: 1-line block ×4, first 2 shown]
	v_sub_f32_e32 v54, v33, v7
	v_fmamk_f32 v14, v50, 0xbeedf032, v39
	v_fmamk_f32 v15, v50, 0xbf52af12, v19
	;; [unrolled: 1-line block ×4, first 2 shown]
	v_mul_f32_e32 v40, 0x3df6dbef, v61
	v_add_f32_e32 v14, v0, v14
	v_add_f32_e32 v15, v0, v15
	;; [unrolled: 1-line block ×3, first 2 shown]
	v_mul_f32_e32 v48, 0x3df6dbef, v56
	v_fmamk_f32 v45, v54, 0xbf7e222b, v40
	v_add_f32_e32 v14, v17, v14
	v_add_f32_e32 v15, v42, v15
	v_sub_f32_e32 v58, v31, v21
	v_mul_f32_e32 v42, 0xbeb58ec6, v64
	v_add_f32_e32 v68, v28, v22
	v_mul_f32_e32 v55, 0xbeb58ec6, v56
	v_fmamk_f32 v16, v50, 0xbf7e222b, v48
	v_mul_f32_e32 v44, 0xbf788fa5, v59
	v_mul_f32_e32 v41, 0xbf788fa5, v61
	v_add_f32_e32 v14, v14, v45
	v_fmamk_f32 v47, v58, 0xbf6f5d39, v42
	v_sub_f32_e32 v52, v29, v23
	v_mul_f32_e32 v45, 0xbf3f9e67, v68
	v_fmamk_f32 v18, v50, 0xbf6f5d39, v55
	v_add_f32_e32 v16, v0, v16
	v_fmamk_f32 v17, v51, 0xbe750f2a, v44
	v_fmamk_f32 v46, v54, 0xbe750f2a, v41
	v_mul_f32_e32 v43, 0xbf3f9e67, v64
	v_add_f32_e32 v14, v47, v14
	v_fmamk_f32 v57, v52, 0xbf29c268, v45
	v_mul_f32_e32 v67, 0xbf3f9e67, v59
	v_add_f32_e32 v15, v15, v46
	;; [unrolled: 3-line block ×3, first 2 shown]
	v_add_f32_e32 v14, v57, v14
	v_add_f32_e32 v17, v0, v18
	v_fmamk_f32 v18, v51, 0x3f29c268, v67
	v_mul_f32_e32 v57, 0xbeb58ec6, v61
	v_add_f32_e32 v15, v49, v15
	v_fmamk_f32 v60, v52, 0x3f7e222b, v46
	v_mul_f32_e32 v70, 0x3f62ad3f, v61
	;; [unrolled: 3-line block ×7, first 2 shown]
	v_mul_f32_e32 v71, 0x3df6dbef, v64
	v_add_f32_e32 v16, v63, v16
	v_fmamk_f32 v72, v52, 0xbf52af12, v60
	v_add_f32_e32 v18, v65, v18
	v_fmamk_f32 v65, v54, 0xbf52af12, v74
	v_mul_f32_e32 v75, 0xbf788fa5, v64
	v_add_f32_e32 v69, v26, v24
	v_fmamk_f32 v63, v58, 0xbf7e222b, v71
	v_mul_f32_e32 v66, 0xbf788fa5, v68
	v_add_f32_e32 v80, v72, v16
	v_add_f32_e32 v16, v18, v65
	v_fmamk_f32 v18, v58, 0x3e750f2a, v75
	v_mul_f32_e32 v73, 0x3f62ad3f, v68
	v_sub_f32_e32 v53, v27, v25
	v_mul_f32_e32 v47, 0xbf788fa5, v69
	v_mul_f32_e32 v49, 0x3f62ad3f, v69
	v_add_f32_e32 v17, v63, v17
	v_fmamk_f32 v81, v52, 0x3e750f2a, v66
	v_mul_f32_e32 v63, 0xbf3f9e67, v69
	v_mul_f32_e32 v65, 0x3f116cb1, v69
	v_add_f32_e32 v16, v18, v16
	v_fmamk_f32 v18, v52, 0x3eedf032, v73
	v_mul_f32_e32 v72, 0xbeb58ec6, v69
	v_fmamk_f32 v78, v53, 0xbe750f2a, v47
	v_fmamk_f32 v79, v53, 0x3eedf032, v49
	v_add_f32_e32 v17, v81, v17
	v_fmamk_f32 v81, v53, 0xbf29c268, v63
	v_fmamk_f32 v82, v53, 0x3f52af12, v65
	v_add_f32_e32 v83, v18, v16
	v_fmamk_f32 v84, v53, 0xbf6f5d39, v72
	v_add_f32_e32 v16, v78, v14
	v_add_f32_e32 v15, v79, v15
	;; [unrolled: 1-line block ×5, first 2 shown]
	s_and_saveexec_b32 s1, s0
	s_cbranch_execz .LBB0_13
; %bb.12:
	v_mul_f32_e32 v78, 0xbe750f2a, v50
	v_mul_f32_e32 v79, 0x3eedf032, v51
	;; [unrolled: 1-line block ×5, first 2 shown]
	v_fmamk_f32 v83, v56, 0xbf788fa5, v78
	v_fma_f32 v56, 0xbf788fa5, v56, -v78
	v_fmamk_f32 v78, v59, 0x3f62ad3f, v79
	v_fma_f32 v59, 0x3f62ad3f, v59, -v79
	v_fmamk_f32 v79, v61, 0xbf3f9e67, v80
	v_add_f32_e32 v83, v0, v83
	v_add_f32_e32 v56, v0, v56
	v_fma_f32 v61, 0xbf3f9e67, v61, -v80
	v_mul_f32_e32 v85, 0x3f7e222b, v51
	v_fmamk_f32 v80, v64, 0x3f116cb1, v81
	v_add_f32_e32 v78, v78, v83
	v_add_f32_e32 v56, v59, v56
	v_fma_f32 v64, 0x3f116cb1, v64, -v81
	v_sub_f32_e32 v76, v76, v84
	v_mul_f32_e32 v82, 0xbf6f5d39, v52
	v_add_f32_e32 v59, v78, v79
	v_add_f32_e32 v56, v56, v61
	v_sub_f32_e32 v61, v77, v85
	v_add_f32_e32 v76, v0, v76
	v_fmamk_f32 v78, v68, 0xbeb58ec6, v82
	v_fma_f32 v68, 0xbeb58ec6, v68, -v82
	v_add_f32_e32 v56, v64, v56
	v_mul_f32_e32 v64, 0xbf52af12, v54
	v_add_f32_e32 v59, v80, v59
	v_add_f32_e32 v61, v61, v76
	v_mul_f32_e32 v76, 0xbf7e222b, v50
	v_add_f32_e32 v56, v68, v56
	v_sub_f32_e32 v64, v74, v64
	v_add_f32_e32 v59, v78, v59
	v_mul_f32_e32 v78, 0xbeedf032, v50
	v_mul_f32_e32 v68, 0xbf52af12, v50
	;; [unrolled: 1-line block ×4, first 2 shown]
	v_add_f32_e32 v61, v61, v64
	v_mul_f32_e32 v64, 0x3f29c268, v51
	v_sub_f32_e32 v48, v48, v76
	v_sub_f32_e32 v74, v75, v74
	;; [unrolled: 1-line block ×3, first 2 shown]
	v_add_f32_e32 v76, v0, v36
	v_sub_f32_e32 v64, v67, v64
	v_mul_f32_e32 v67, 0x3eedf032, v52
	v_add_f32_e32 v61, v74, v61
	v_add_f32_e32 v50, v0, v50
	v_mul_f32_e32 v74, 0x3eedf032, v54
	v_add_f32_e32 v76, v76, v34
	v_sub_f32_e32 v67, v73, v67
	v_mul_f32_e32 v73, 0xbf7e222b, v54
	v_add_f32_e32 v50, v64, v50
	v_mul_f32_e32 v64, 0xbf6f5d39, v53
	v_sub_f32_e32 v70, v70, v74
	v_add_f32_e32 v61, v67, v61
	v_mul_f32_e32 v67, 0xbf7e222b, v58
	v_mul_f32_e32 v74, 0xbe750f2a, v54
	v_sub_f32_e32 v64, v72, v64
	v_add_f32_e32 v50, v50, v70
	v_mul_f32_e32 v54, 0x3f6f5d39, v54
	v_sub_f32_e32 v67, v71, v67
	v_mul_f32_e32 v71, 0xbf29c268, v52
	v_add_f32_e32 v61, v64, v61
	v_mul_f32_e32 v64, 0x3f7e222b, v52
	v_add_f32_e32 v76, v76, v32
	v_add_f32_e32 v50, v67, v50
	v_mul_f32_e32 v67, 0xbf52af12, v52
	v_mul_f32_e32 v52, 0x3e750f2a, v52
	v_sub_f32_e32 v54, v57, v54
	v_add_f32_e32 v57, v76, v30
	v_mul_f32_e32 v75, 0xbf52af12, v51
	v_sub_f32_e32 v39, v39, v78
	v_sub_f32_e32 v52, v66, v52
	v_mul_f32_e32 v55, 0xbf6f5d39, v51
	v_sub_f32_e32 v19, v19, v68
	v_sub_f32_e32 v38, v38, v75
	v_add_f32_e32 v39, v0, v39
	v_add_f32_e32 v50, v52, v50
	;; [unrolled: 1-line block ×3, first 2 shown]
	v_mul_f32_e32 v51, 0xbe750f2a, v51
	v_add_f32_e32 v48, v0, v48
	v_add_f32_e32 v0, v0, v19
	v_sub_f32_e32 v13, v13, v55
	v_add_f32_e32 v52, v52, v26
	v_add_f32_e32 v38, v38, v39
	v_sub_f32_e32 v44, v44, v51
	v_mul_f32_e32 v72, 0xbf6f5d39, v58
	v_mul_f32_e32 v70, 0x3f29c268, v58
	v_add_f32_e32 v39, v52, v24
	v_sub_f32_e32 v40, v40, v73
	v_add_f32_e32 v0, v13, v0
	v_sub_f32_e32 v13, v41, v74
	v_mul_f32_e32 v58, 0x3eedf032, v58
	v_add_f32_e32 v39, v39, v22
	v_add_f32_e32 v44, v44, v48
	;; [unrolled: 1-line block ×3, first 2 shown]
	v_sub_f32_e32 v40, v42, v72
	v_add_f32_e32 v0, v0, v13
	v_sub_f32_e32 v13, v43, v70
	v_add_f32_e32 v39, v39, v20
	v_add_f32_e32 v44, v44, v54
	v_sub_f32_e32 v54, v62, v58
	v_mul_f32_e32 v51, 0xbe750f2a, v53
	v_add_f32_e32 v38, v40, v38
	v_sub_f32_e32 v40, v45, v71
	v_add_f32_e32 v0, v13, v0
	v_add_f32_e32 v13, v39, v6
	v_mul_f32_e32 v86, 0x3f7e222b, v53
	v_mul_f32_e32 v66, 0x3eedf032, v53
	;; [unrolled: 1-line block ×4, first 2 shown]
	v_add_f32_e32 v19, v54, v44
	v_sub_f32_e32 v41, v60, v67
	v_sub_f32_e32 v39, v46, v64
	v_add_f32_e32 v38, v40, v38
	v_sub_f32_e32 v40, v47, v51
	v_add_f32_e32 v13, v2, v13
	v_add_f32_e32 v19, v41, v19
	v_sub_f32_e32 v41, v63, v53
	v_add_f32_e32 v0, v39, v0
	v_sub_f32_e32 v39, v49, v66
	v_sub_f32_e32 v48, v65, v48
	v_fmamk_f32 v77, v69, 0x3df6dbef, v86
	v_fma_f32 v69, 0x3df6dbef, v69, -v86
	v_add_f32_e32 v38, v40, v38
	v_add_f32_e32 v13, v4, v13
	v_mad_u32_u24 v40, v12, 52, 0
	v_add_f32_e32 v19, v41, v19
	v_add_f32_e32 v0, v39, v0
	;; [unrolled: 1-line block ×5, first 2 shown]
	ds_write2_b32 v40, v13, v38 offset1:1
	ds_write2_b32 v40, v0, v19 offset0:2 offset1:3
	ds_write2_b32 v40, v39, v61 offset0:4 offset1:5
	;; [unrolled: 1-line block ×5, first 2 shown]
	ds_write_b32 v40, v16 offset:48
.LBB0_13:
	s_or_b32 exec_lo, exec_lo, s1
	v_sub_f32_e32 v50, v36, v4
	v_add_f32_e32 v4, v37, v5
	v_sub_f32_e32 v2, v34, v2
	v_add_f32_e32 v0, v35, v3
	v_sub_f32_e32 v32, v32, v6
	v_mul_f32_e32 v61, 0xbeedf032, v50
	v_mul_f32_e32 v56, 0xbf52af12, v50
	;; [unrolled: 1-line block ×5, first 2 shown]
	v_fma_f32 v13, 0x3f62ad3f, v4, -v61
	v_fma_f32 v19, 0x3f116cb1, v4, -v56
	v_mul_f32_e32 v51, 0xbf6f5d39, v2
	v_mul_f32_e32 v59, 0xbf29c268, v50
	v_fma_f32 v34, 0x3df6dbef, v4, -v57
	v_add_f32_e32 v13, v1, v13
	v_add_f32_e32 v19, v1, v19
	v_fma_f32 v36, 0xbeb58ec6, v4, -v58
	v_fma_f32 v39, 0x3f116cb1, v0, -v53
	v_fma_f32 v40, 0xbeb58ec6, v0, -v51
	v_mul_f32_e32 v77, 0xbe750f2a, v2
	v_mul_f32_e32 v66, 0x3f29c268, v2
	v_fma_f32 v38, 0xbf3f9e67, v4, -v59
	v_add_f32_e32 v34, v1, v34
	v_add_f32_e32 v36, v1, v36
	;; [unrolled: 1-line block ×4, first 2 shown]
	v_mul_f32_e32 v64, 0x3f7e222b, v2
	v_add_f32_e32 v6, v33, v7
	v_fma_f32 v39, 0xbf788fa5, v0, -v77
	v_fma_f32 v40, 0xbf3f9e67, v0, -v66
	v_mul_f32_e32 v55, 0xbe750f2a, v32
	v_add_f32_e32 v38, v1, v38
	v_mul_f32_e32 v54, 0xbf7e222b, v32
	v_fma_f32 v41, 0x3df6dbef, v0, -v64
	v_add_f32_e32 v39, v39, v34
	v_add_f32_e32 v40, v40, v36
	v_fma_f32 v34, 0xbf788fa5, v6, -v55
	v_mul_f32_e32 v60, 0x3eedf032, v32
	v_mul_f32_e32 v62, 0xbf52af12, v32
	v_sub_f32_e32 v36, v30, v20
	v_mul_f32_e32 v68, 0x3f6f5d39, v32
	v_fma_f32 v42, 0x3df6dbef, v6, -v54
	v_add_f32_e32 v38, v41, v38
	v_add_f32_e32 v19, v19, v34
	v_fma_f32 v30, 0x3f62ad3f, v6, -v60
	v_fma_f32 v41, 0x3f116cb1, v6, -v62
	v_add_f32_e32 v34, v31, v21
	v_mul_f32_e32 v63, 0xbf7e222b, v36
	v_mul_f32_e32 v65, 0x3e750f2a, v36
	v_sub_f32_e32 v52, v28, v22
	v_fma_f32 v20, 0xbeb58ec6, v6, -v68
	v_mul_f32_e32 v67, 0xbf6f5d39, v36
	v_add_f32_e32 v13, v13, v42
	v_add_f32_e32 v30, v40, v30
	;; [unrolled: 1-line block ×3, first 2 shown]
	v_fma_f32 v41, 0x3df6dbef, v34, -v63
	v_fma_f32 v42, 0xbf788fa5, v34, -v65
	v_add_f32_e32 v28, v29, v23
	v_mul_f32_e32 v70, 0x3eedf032, v52
	v_add_f32_e32 v20, v39, v20
	v_mul_f32_e32 v71, 0x3f29c268, v36
	v_fma_f32 v39, 0xbeb58ec6, v34, -v67
	v_mul_f32_e32 v72, 0x3eedf032, v36
	v_add_f32_e32 v22, v41, v30
	v_add_f32_e32 v30, v42, v38
	v_mul_f32_e32 v76, 0xbf29c268, v52
	v_fma_f32 v42, 0x3f62ad3f, v28, -v70
	v_fma_f32 v40, 0xbf3f9e67, v34, -v71
	v_add_f32_e32 v13, v39, v13
	v_fma_f32 v39, 0x3f62ad3f, v34, -v72
	v_mul_f32_e32 v73, 0x3f7e222b, v52
	v_mul_f32_e32 v74, 0xbf52af12, v52
	;; [unrolled: 1-line block ×3, first 2 shown]
	v_fma_f32 v38, 0xbf3f9e67, v28, -v76
	v_add_f32_e32 v83, v42, v30
	v_lshl_add_u32 v30, v12, 2, 0
	v_add_f32_e32 v19, v40, v19
	v_add_f32_e32 v20, v39, v20
	v_fma_f32 v39, 0x3df6dbef, v28, -v73
	v_fma_f32 v40, 0x3f116cb1, v28, -v74
	;; [unrolled: 1-line block ×3, first 2 shown]
	v_add_f32_e32 v38, v38, v13
	v_add_nc_u32_e32 v13, 0x500, v30
	v_add_f32_e32 v82, v39, v19
	v_add_nc_u32_e32 v19, 0xb00, v30
	v_add_f32_e32 v20, v40, v20
	v_add_f32_e32 v40, v41, v22
	v_add_nc_u32_e32 v22, 0x1000, v30
	s_waitcnt lgkmcnt(0)
	s_barrier
	buffer_gl0_inv
	ds_read2_b32 v[44:45], v30 offset1:182
	ds_read2_b32 v[48:49], v13 offset0:44 offset1:226
	ds_read2_b32 v[42:43], v19 offset0:24 offset1:206
	;; [unrolled: 1-line block ×3, first 2 shown]
	v_sub_f32_e32 v24, v26, v24
	v_add_f32_e32 v75, v27, v25
	s_waitcnt lgkmcnt(0)
	s_barrier
	buffer_gl0_inv
	v_mul_f32_e32 v81, 0xbe750f2a, v24
	v_mul_f32_e32 v80, 0x3eedf032, v24
	;; [unrolled: 1-line block ×5, first 2 shown]
	v_fma_f32 v39, 0xbf788fa5, v75, -v81
	v_fma_f32 v41, 0x3f62ad3f, v75, -v80
	;; [unrolled: 1-line block ×5, first 2 shown]
	v_add_f32_e32 v39, v39, v38
	v_add_f32_e32 v38, v41, v82
	;; [unrolled: 1-line block ×5, first 2 shown]
	s_and_saveexec_b32 s1, s0
	s_cbranch_execz .LBB0_15
; %bb.14:
	v_add_f32_e32 v37, v1, v37
	v_mul_f32_e32 v83, 0x3f116cb1, v4
	v_mul_f32_e32 v82, 0x3f62ad3f, v4
	;; [unrolled: 1-line block ×4, first 2 shown]
	v_add_f32_e32 v35, v37, v35
	v_mul_f32_e32 v87, 0xbeb58ec6, v0
	v_mul_f32_e32 v37, 0xbf3f9e67, v4
	;; [unrolled: 1-line block ×3, first 2 shown]
	v_add_f32_e32 v61, v82, v61
	v_add_f32_e32 v33, v35, v33
	v_mul_f32_e32 v35, 0xbf3f9e67, v0
	v_mul_f32_e32 v88, 0xbf788fa5, v0
	;; [unrolled: 1-line block ×3, first 2 shown]
	v_add_f32_e32 v37, v37, v59
	v_add_f32_e32 v31, v33, v31
	v_mul_f32_e32 v2, 0x3eedf032, v2
	v_mul_f32_e32 v89, 0x3df6dbef, v0
	;; [unrolled: 1-line block ×4, first 2 shown]
	v_add_f32_e32 v29, v31, v29
	v_add_f32_e32 v37, v1, v37
	v_mul_f32_e32 v93, 0x3f116cb1, v6
	v_mul_f32_e32 v32, 0xbf29c268, v32
	v_mul_f32_e32 v92, 0x3f62ad3f, v6
	v_add_f32_e32 v27, v29, v27
	v_mul_f32_e32 v94, 0xbeb58ec6, v34
	v_mul_f32_e32 v31, 0xbf3f9e67, v34
	v_mul_f32_e32 v95, 0x3f62ad3f, v34
	v_mul_f32_e32 v96, 0x3df6dbef, v34
	v_add_f32_e32 v25, v27, v25
	v_mul_f32_e32 v97, 0xbf788fa5, v34
	;; [unrolled: 5-line block ×3, first 2 shown]
	v_mul_f32_e32 v27, 0x3f62ad3f, v28
	v_mul_f32_e32 v101, 0xbf788fa5, v75
	;; [unrolled: 1-line block ×3, first 2 shown]
	v_add_f32_e32 v21, v23, v21
	v_add_f32_e32 v23, v83, v56
	;; [unrolled: 1-line block ×4, first 2 shown]
	v_mul_f32_e32 v102, 0x3f62ad3f, v75
	v_add_f32_e32 v7, v21, v7
	v_fmamk_f32 v21, v4, 0xbf788fa5, v25
	v_fma_f32 v4, 0xbf788fa5, v4, -v25
	v_add_f32_e32 v25, v86, v53
	v_add_f32_e32 v53, v1, v61
	v_add_f32_e32 v3, v3, v7
	v_add_f32_e32 v7, v1, v23
	v_add_f32_e32 v23, v1, v56
	v_add_f32_e32 v56, v1, v57
	v_add_f32_e32 v25, v25, v53
	v_add_f32_e32 v3, v5, v3
	v_add_f32_e32 v5, v1, v21
	v_add_f32_e32 v21, v87, v51
	v_add_f32_e32 v1, v1, v4
	v_add_f32_e32 v4, v88, v77
	v_mul_f32_e32 v103, 0xbf3f9e67, v75
	v_mul_f32_e32 v50, 0x3f116cb1, v75
	v_add_f32_e32 v7, v21, v7
	v_add_f32_e32 v21, v35, v66
	v_fmamk_f32 v35, v0, 0x3f62ad3f, v2
	v_fma_f32 v0, 0x3f62ad3f, v0, -v2
	v_add_f32_e32 v4, v4, v23
	v_add_f32_e32 v23, v89, v64
	;; [unrolled: 1-line block ×13, first 2 shown]
	v_mul_f32_e32 v104, 0xbeb58ec6, v75
	v_add_f32_e32 v4, v4, v25
	v_fmamk_f32 v25, v6, 0xbf3f9e67, v32
	v_fma_f32 v6, 0xbf3f9e67, v6, -v32
	v_add_f32_e32 v7, v23, v7
	v_add_f32_e32 v23, v94, v67
	v_add_f32_e32 v2, v2, v33
	v_add_f32_e32 v5, v5, v25
	v_add_f32_e32 v25, v31, v71
	v_add_f32_e32 v0, v0, v6
	v_add_f32_e32 v6, v95, v72
	v_add_f32_e32 v21, v23, v21
	v_mul_f32_e32 v23, 0x3f52af12, v36
	v_add_f32_e32 v1, v25, v1
	v_add_f32_e32 v25, v96, v63
	;; [unrolled: 1-line block ×4, first 2 shown]
	v_fmamk_f32 v31, v34, 0x3f116cb1, v23
	v_fma_f32 v23, 0x3f116cb1, v34, -v23
	v_add_f32_e32 v2, v25, v2
	v_add_f32_e32 v25, v29, v76
	;; [unrolled: 1-line block ×7, first 2 shown]
	v_mul_f32_e32 v25, 0xbf6f5d39, v52
	v_add_f32_e32 v1, v7, v1
	v_add_f32_e32 v7, v27, v70
	;; [unrolled: 1-line block ×4, first 2 shown]
	v_fmamk_f32 v23, v28, 0xbeb58ec6, v25
	v_fma_f32 v25, 0xbeb58ec6, v28, -v25
	v_add_f32_e32 v6, v7, v6
	v_add_f32_e32 v7, v101, v81
	;; [unrolled: 1-line block ×8, first 2 shown]
	v_mul_f32_e32 v21, 0x3f7e222b, v24
	v_add_f32_e32 v2, v29, v2
	v_add_f32_e32 v1, v23, v1
	;; [unrolled: 1-line block ×5, first 2 shown]
	v_fmamk_f32 v25, v75, 0x3df6dbef, v21
	v_fma_f32 v21, 0x3df6dbef, v75, -v21
	v_add_f32_e32 v2, v23, v2
	v_mad_u32_u24 v23, v12, 48, v30
	v_add_f32_e32 v6, v24, v6
	v_add_f32_e32 v5, v25, v5
	;; [unrolled: 1-line block ×3, first 2 shown]
	ds_write2_b32 v23, v3, v7 offset1:1
	ds_write2_b32 v23, v1, v4 offset0:2 offset1:3
	ds_write2_b32 v23, v2, v6 offset0:4 offset1:5
	;; [unrolled: 1-line block ×5, first 2 shown]
	ds_write_b32 v23, v39 offset:48
.LBB0_15:
	s_or_b32 exec_lo, exec_lo, s1
	v_and_b32_e32 v0, 0xff, v12
	v_add_nc_u32_e32 v31, 0xb6, v12
	v_mov_b32_e32 v1, 0x4ec5
	s_load_dwordx2 s[2:3], s[2:3], 0x0
	s_waitcnt lgkmcnt(0)
	v_mul_lo_u16 v33, 0x4f, v0
	s_barrier
	v_mul_u32_u24_sdwa v0, v31, v1 dst_sel:DWORD dst_unused:UNUSED_PAD src0_sel:WORD_0 src1_sel:DWORD
	v_mov_b32_e32 v1, 3
	buffer_gl0_inv
	v_lshrrev_b16 v29, 10, v33
	v_add_nc_u32_e32 v35, 0xd00, v30
	v_lshrrev_b32_e32 v32, 18, v0
	v_cmp_gt_u32_e64 s0, 26, v12
	v_mul_lo_u16 v0, v29, 13
	v_mul_lo_u16 v2, v32, 13
	v_mul_u32_u24_e32 v32, 0xd0, v32
	v_sub_nc_u16 v34, v12, v0
	v_sub_nc_u16 v36, v31, v2
	v_mul_u32_u24_sdwa v0, v34, v1 dst_sel:DWORD dst_unused:UNUSED_PAD src0_sel:BYTE_0 src1_sel:DWORD
	v_mul_u32_u24_sdwa v1, v36, v1 dst_sel:DWORD dst_unused:UNUSED_PAD src0_sel:WORD_0 src1_sel:DWORD
	v_lshlrev_b32_e32 v4, 3, v0
	v_lshlrev_b32_e32 v21, 3, v1
	s_clause 0x3
	global_load_dwordx4 v[0:3], v4, s[12:13]
	global_load_dwordx2 v[23:24], v4, s[12:13] offset:16
	global_load_dwordx4 v[4:7], v21, s[12:13]
	global_load_dwordx2 v[50:51], v21, s[12:13] offset:16
	ds_read2_b32 v[52:53], v13 offset0:44 offset1:226
	ds_read2_b32 v[25:26], v19 offset0:24 offset1:206
	;; [unrolled: 1-line block ×3, first 2 shown]
	v_mov_b32_e32 v13, 0xd0
	v_mov_b32_e32 v19, 2
	ds_read2_b32 v[27:28], v30 offset1:182
	s_waitcnt vmcnt(0) lgkmcnt(0)
	s_barrier
	v_mul_u32_u24_sdwa v13, v29, v13 dst_sel:DWORD dst_unused:UNUSED_PAD src0_sel:WORD_0 src1_sel:DWORD
	v_lshlrev_b32_sdwa v29, v19, v34 dst_sel:DWORD dst_unused:UNUSED_PAD src0_sel:DWORD src1_sel:BYTE_0
	v_lshlrev_b32_sdwa v54, v19, v36 dst_sel:DWORD dst_unused:UNUSED_PAD src0_sel:DWORD src1_sel:WORD_0
	v_add_nc_u32_e32 v34, 0x600, v30
	buffer_gl0_inv
	v_add3_u32 v36, 0, v13, v29
	v_mul_f32_e32 v13, v52, v1
	v_mul_f32_e32 v1, v48, v1
	;; [unrolled: 1-line block ×10, first 2 shown]
	v_fma_f32 v13, v48, v0, -v13
	v_fmac_f32_e32 v1, v52, v0
	v_fma_f32 v0, v42, v2, -v29
	v_fma_f32 v29, v46, v23, -v37
	v_fmac_f32_e32 v24, v21, v23
	v_fma_f32 v21, v49, v4, -v55
	v_fmac_f32_e32 v19, v53, v4
	v_fma_f32 v4, v43, v6, -v5
	v_fma_f32 v5, v47, v50, -v56
	v_fmac_f32_e32 v51, v22, v50
	v_sub_f32_e32 v22, v44, v0
	v_sub_f32_e32 v37, v13, v29
	;; [unrolled: 1-line block ×5, first 2 shown]
	v_fma_f32 v5, v44, 2.0, -v22
	v_fma_f32 v23, v13, 2.0, -v37
	v_sub_f32_e32 v48, v19, v51
	v_fma_f32 v24, v45, 2.0, -v4
	v_fma_f32 v21, v21, 2.0, -v46
	v_sub_f32_e32 v29, v22, v47
	v_sub_f32_e32 v23, v5, v23
	;; [unrolled: 1-line block ×3, first 2 shown]
	v_add3_u32 v0, 0, v32, v54
	v_sub_f32_e32 v21, v24, v21
	v_fma_f32 v22, v22, 2.0, -v29
	v_fma_f32 v5, v5, 2.0, -v23
	;; [unrolled: 1-line block ×4, first 2 shown]
	ds_write2_b32 v36, v23, v29 offset0:26 offset1:39
	ds_write2_b32 v36, v5, v22 offset1:13
	ds_write2_b32 v0, v24, v4 offset1:13
	ds_write2_b32 v0, v21, v13 offset0:26 offset1:39
	s_waitcnt lgkmcnt(0)
	s_barrier
	buffer_gl0_inv
	ds_read2_b32 v[4:5], v30 offset1:208
	ds_read2_b32 v[23:24], v34 offset0:32 offset1:240
	ds_read2_b32 v[21:22], v35 offset1:208
	ds_read_b32 v32, v30 offset:4992
                                        ; implicit-def: $vgpr29
	s_and_saveexec_b32 s1, s0
	s_cbranch_execz .LBB0_17
; %bb.16:
	v_add_nc_u32_e32 v13, 0x280, v30
	v_add_nc_u32_e32 v15, 0x900, v30
	;; [unrolled: 1-line block ×3, first 2 shown]
	ds_read2_b32 v[13:14], v13 offset0:22 offset1:230
	ds_read2_b32 v[17:18], v15 offset0:22 offset1:230
	;; [unrolled: 1-line block ×3, first 2 shown]
	ds_read_b32 v29, v30 offset:5720
.LBB0_17:
	s_or_b32 exec_lo, exec_lo, s1
	v_mul_f32_e32 v3, v42, v3
	v_mul_f32_e32 v7, v43, v7
	v_fma_f32 v1, v1, 2.0, -v47
	s_waitcnt lgkmcnt(0)
	s_barrier
	v_fmac_f32_e32 v3, v25, v2
	v_fmac_f32_e32 v7, v26, v6
	v_fma_f32 v6, v19, 2.0, -v48
	buffer_gl0_inv
	v_sub_f32_e32 v2, v27, v3
	v_sub_f32_e32 v3, v28, v7
	v_fma_f32 v7, v27, 2.0, -v2
	v_fma_f32 v25, v28, 2.0, -v3
	v_add_f32_e32 v26, v2, v37
	v_add_f32_e32 v19, v3, v46
                                        ; implicit-def: $vgpr27
	v_sub_f32_e32 v1, v7, v1
	v_sub_f32_e32 v6, v25, v6
	v_fma_f32 v2, v2, 2.0, -v26
	v_fma_f32 v3, v3, 2.0, -v19
	;; [unrolled: 1-line block ×4, first 2 shown]
	ds_write2_b32 v36, v1, v26 offset0:26 offset1:39
	ds_write2_b32 v36, v7, v2 offset1:13
	ds_write2_b32 v0, v25, v3 offset1:13
	ds_write2_b32 v0, v6, v19 offset0:26 offset1:39
	s_waitcnt lgkmcnt(0)
	s_barrier
	buffer_gl0_inv
	ds_read2_b32 v[0:1], v30 offset1:208
	ds_read2_b32 v[6:7], v34 offset0:32 offset1:240
	ds_read2_b32 v[2:3], v35 offset1:208
	ds_read_b32 v34, v30 offset:4992
	s_and_saveexec_b32 s1, s0
	s_cbranch_execz .LBB0_19
; %bb.18:
	v_add_nc_u32_e32 v19, 0x280, v30
	v_add_nc_u32_e32 v25, 0x900, v30
	;; [unrolled: 1-line block ×3, first 2 shown]
	ds_read2_b32 v[19:20], v19 offset0:22 offset1:230
	ds_read2_b32 v[40:41], v25 offset0:22 offset1:230
	;; [unrolled: 1-line block ×3, first 2 shown]
	ds_read_b32 v27, v30 offset:5720
.LBB0_19:
	s_or_b32 exec_lo, exec_lo, s1
	v_lshrrev_b16 v25, 12, v33
	v_mov_b32_e32 v33, 0x4ec5
	v_mov_b32_e32 v28, 6
	v_mul_lo_u16 v26, v25, 52
	v_mul_u32_u24_sdwa v33, v31, v33 dst_sel:DWORD dst_unused:UNUSED_PAD src0_sel:WORD_0 src1_sel:DWORD
	v_sub_nc_u16 v26, v12, v26
	v_lshrrev_b32_e32 v33, 20, v33
	v_mul_u32_u24_sdwa v28, v26, v28 dst_sel:DWORD dst_unused:UNUSED_PAD src0_sel:BYTE_0 src1_sel:DWORD
	v_mul_lo_u16 v33, v33, 52
	v_lshlrev_b32_e32 v28, 3, v28
	s_clause 0x2
	global_load_dwordx4 v[46:49], v28, s[12:13] offset:312
	global_load_dwordx4 v[50:53], v28, s[12:13] offset:328
	;; [unrolled: 1-line block ×3, first 2 shown]
	v_sub_nc_u16 v28, v31, v33
	v_mov_b32_e32 v33, 2
	v_and_b32_e32 v31, 0xffff, v28
	v_lshlrev_b32_sdwa v26, v33, v26 dst_sel:DWORD dst_unused:UNUSED_PAD src0_sel:DWORD src1_sel:BYTE_0
	v_mul_u32_u24_e32 v28, 6, v31
	v_lshlrev_b32_e32 v28, 3, v28
	s_clause 0x2
	global_load_dwordx4 v[58:61], v28, s[12:13] offset:312
	global_load_dwordx4 v[62:65], v28, s[12:13] offset:328
	;; [unrolled: 1-line block ×3, first 2 shown]
	v_mov_b32_e32 v28, 0x5b0
	s_waitcnt vmcnt(0) lgkmcnt(0)
	s_barrier
	buffer_gl0_inv
	v_mul_u32_u24_sdwa v25, v25, v28 dst_sel:DWORD dst_unused:UNUSED_PAD src0_sel:WORD_0 src1_sel:DWORD
	v_add3_u32 v26, 0, v25, v26
	v_lshl_add_u32 v25, v31, 2, 0
	v_add_nc_u32_e32 v28, 0x200, v26
	v_mul_f32_e32 v31, v1, v47
	v_mul_f32_e32 v36, v5, v47
	;; [unrolled: 1-line block ×12, first 2 shown]
	v_fma_f32 v44, v5, v46, -v31
	v_fmac_f32_e32 v36, v1, v46
	v_fma_f32 v5, v23, v48, -v33
	v_fmac_f32_e32 v37, v6, v48
	v_fma_f32 v6, v24, v50, -v47
	v_fma_f32 v47, v32, v56, -v53
	;; [unrolled: 1-line block ×3, first 2 shown]
	v_fmac_f32_e32 v35, v7, v50
	v_fma_f32 v7, v21, v52, -v49
	v_fmac_f32_e32 v45, v34, v56
	v_fmac_f32_e32 v43, v3, v54
	v_fmac_f32_e32 v42, v2, v52
	v_add_f32_e32 v2, v44, v47
	v_add_f32_e32 v32, v5, v46
	v_sub_f32_e32 v3, v36, v45
	v_sub_f32_e32 v33, v37, v43
	v_add_f32_e32 v34, v6, v7
	v_sub_f32_e32 v48, v42, v35
	v_mul_f32_e32 v49, v20, v59
	v_add_f32_e32 v55, v32, v2
	v_mul_f32_e32 v21, v14, v59
	v_mul_f32_e32 v50, v40, v61
	;; [unrolled: 1-line block ×5, first 2 shown]
	v_sub_f32_e32 v56, v32, v2
	v_sub_f32_e32 v2, v2, v34
	;; [unrolled: 1-line block ×5, first 2 shown]
	v_fma_f32 v32, v14, v58, -v49
	v_add_f32_e32 v14, v34, v55
	v_mul_f32_e32 v52, v38, v65
	v_mul_f32_e32 v23, v15, v65
	v_add_f32_e32 v59, v48, v33
	v_sub_f32_e32 v48, v3, v48
	v_fmac_f32_e32 v21, v20, v58
	v_mul_f32_e32 v2, 0x3f4a47b2, v2
	v_mul_f32_e32 v20, 0xbf08b237, v61
	;; [unrolled: 1-line block ×3, first 2 shown]
	v_add_f32_e32 v4, v4, v14
	v_fma_f32 v33, v15, v64, -v52
	v_mul_f32_e32 v15, 0x3d64c772, v57
	v_fmac_f32_e32 v22, v40, v60
	v_fmac_f32_e32 v1, v41, v62
	;; [unrolled: 1-line block ×3, first 2 shown]
	v_add_f32_e32 v3, v59, v3
	v_fmamk_f32 v38, v57, 0x3d64c772, v2
	v_fmamk_f32 v40, v48, 0x3eae86e6, v20
	v_fma_f32 v20, 0x3f5ff5aa, v63, -v20
	v_fma_f32 v41, 0xbeae86e6, v48, -v34
	v_fmamk_f32 v14, v14, 0xbf955555, v4
	v_fma_f32 v15, 0x3f3bfb3b, v56, -v15
	v_fma_f32 v2, 0xbf3bfb3b, v56, -v2
	v_mul_f32_e32 v53, v39, v67
	v_mul_f32_e32 v24, v16, v67
	;; [unrolled: 1-line block ×4, first 2 shown]
	v_fmac_f32_e32 v40, 0x3ee1c552, v3
	v_fmac_f32_e32 v20, 0x3ee1c552, v3
	;; [unrolled: 1-line block ×3, first 2 shown]
	v_add_f32_e32 v3, v38, v14
	v_add_f32_e32 v2, v2, v14
	;; [unrolled: 1-line block ×3, first 2 shown]
	v_fma_f32 v17, v17, v60, -v50
	v_fma_f32 v18, v18, v62, -v51
	;; [unrolled: 1-line block ×3, first 2 shown]
	v_fmac_f32_e32 v24, v39, v66
	v_fma_f32 v34, v29, v68, -v54
	v_add_f32_e32 v15, v40, v3
	v_fmac_f32_e32 v31, v27, v68
	v_add_f32_e32 v29, v41, v2
	v_sub_f32_e32 v38, v14, v20
	v_add_f32_e32 v14, v20, v14
	v_sub_f32_e32 v2, v2, v41
	v_sub_f32_e32 v3, v3, v40
	ds_write2_b32 v26, v4, v15 offset1:52
	ds_write2_b32 v26, v29, v38 offset0:104 offset1:156
	ds_write2_b32 v28, v14, v2 offset0:80 offset1:132
	ds_write_b32 v26, v3 offset:1248
	s_and_saveexec_b32 s1, s0
	s_cbranch_execz .LBB0_21
; %bb.20:
	v_add_f32_e32 v2, v32, v34
	v_add_f32_e32 v4, v17, v16
	;; [unrolled: 1-line block ×3, first 2 shown]
	v_sub_f32_e32 v14, v23, v1
	v_sub_f32_e32 v27, v22, v24
	;; [unrolled: 1-line block ×3, first 2 shown]
	v_add_f32_e32 v20, v4, v2
	v_sub_f32_e32 v15, v2, v3
	v_sub_f32_e32 v38, v3, v4
	;; [unrolled: 1-line block ×4, first 2 shown]
	v_add_f32_e32 v3, v3, v20
	v_sub_f32_e32 v20, v14, v27
	v_mul_f32_e32 v15, 0x3f4a47b2, v15
	v_mul_f32_e32 v40, 0x3d64c772, v38
	v_sub_f32_e32 v41, v29, v14
	v_add_f32_e32 v13, v13, v3
	v_add_f32_e32 v14, v14, v27
	v_mul_f32_e32 v20, 0xbf08b237, v20
	v_mul_f32_e32 v4, 0x3f5ff5aa, v39
	v_fmamk_f32 v38, v38, 0x3d64c772, v15
	v_fmamk_f32 v3, v3, 0xbf955555, v13
	v_add_f32_e32 v14, v14, v29
	v_fma_f32 v15, 0xbf3bfb3b, v2, -v15
	v_fma_f32 v27, 0x3f5ff5aa, v39, -v20
	;; [unrolled: 1-line block ×3, first 2 shown]
	v_fmamk_f32 v20, v41, 0x3eae86e6, v20
	v_fma_f32 v4, 0xbeae86e6, v41, -v4
	v_add_f32_e32 v15, v15, v3
	v_fmac_f32_e32 v27, 0x3ee1c552, v14
	v_add_f32_e32 v2, v2, v3
	v_add_f32_e32 v3, v38, v3
	v_fmac_f32_e32 v20, 0x3ee1c552, v14
	v_fmac_f32_e32 v4, 0x3ee1c552, v14
	v_add_nc_u32_e32 v38, 0x1000, v25
	v_add_f32_e32 v29, v27, v2
	v_sub_f32_e32 v2, v2, v27
	v_add_f32_e32 v27, v20, v3
	v_sub_f32_e32 v14, v15, v4
	v_add_f32_e32 v4, v4, v15
	v_add_nc_u32_e32 v15, 0x1400, v25
	v_sub_f32_e32 v3, v3, v20
	ds_write2_b32 v38, v13, v27 offset0:68 offset1:120
	ds_write2_b32 v38, v4, v2 offset0:172 offset1:224
	;; [unrolled: 1-line block ×3, first 2 shown]
	ds_write_b32 v25, v3 offset:5616
.LBB0_21:
	s_or_b32 exec_lo, exec_lo, s1
	v_add_f32_e32 v2, v36, v45
	v_add_f32_e32 v3, v37, v43
	v_add_f32_e32 v13, v35, v42
	v_sub_f32_e32 v5, v5, v46
	v_sub_f32_e32 v6, v7, v6
	;; [unrolled: 1-line block ×3, first 2 shown]
	v_add_f32_e32 v7, v3, v2
	v_sub_f32_e32 v14, v3, v2
	v_sub_f32_e32 v2, v2, v13
	;; [unrolled: 1-line block ×3, first 2 shown]
	v_add_f32_e32 v15, v6, v5
	v_add_f32_e32 v7, v13, v7
	v_sub_f32_e32 v13, v6, v5
	v_sub_f32_e32 v6, v4, v6
	;; [unrolled: 1-line block ×3, first 2 shown]
	v_add_f32_e32 v35, v15, v4
	v_add_f32_e32 v0, v0, v7
	v_mul_f32_e32 v2, 0x3f4a47b2, v2
	v_mul_f32_e32 v4, 0x3d64c772, v3
	;; [unrolled: 1-line block ×4, first 2 shown]
	v_fmamk_f32 v36, v7, 0xbf955555, v0
	v_fmamk_f32 v3, v3, 0x3d64c772, v2
	v_fma_f32 v4, 0x3f3bfb3b, v14, -v4
	v_add_nc_u32_e32 v20, 0xb00, v30
	v_add_nc_u32_e32 v27, 0x500, v30
	;; [unrolled: 1-line block ×3, first 2 shown]
	v_fma_f32 v37, 0xbf3bfb3b, v14, -v2
	v_fmamk_f32 v38, v6, 0x3eae86e6, v13
	v_fma_f32 v13, 0x3f5ff5aa, v5, -v13
	v_fma_f32 v39, 0xbeae86e6, v6, -v15
	v_add_f32_e32 v40, v3, v36
	v_add_f32_e32 v41, v4, v36
	s_waitcnt lgkmcnt(0)
	s_barrier
	buffer_gl0_inv
	ds_read2_b32 v[2:3], v30 offset1:182
	ds_read2_b32 v[6:7], v20 offset0:24 offset1:206
	ds_read2_b32 v[4:5], v27 offset0:44 offset1:226
	;; [unrolled: 1-line block ×3, first 2 shown]
	v_fmac_f32_e32 v38, 0x3ee1c552, v35
	v_add_f32_e32 v36, v37, v36
	v_fmac_f32_e32 v39, 0x3ee1c552, v35
	v_fmac_f32_e32 v13, 0x3ee1c552, v35
	s_waitcnt lgkmcnt(0)
	v_sub_f32_e32 v35, v40, v38
	v_add_f32_e32 v38, v38, v40
	v_sub_f32_e32 v37, v36, v39
	v_add_f32_e32 v42, v13, v41
	;; [unrolled: 2-line block ×3, first 2 shown]
	s_barrier
	buffer_gl0_inv
	ds_write2_b32 v26, v0, v35 offset1:52
	ds_write2_b32 v26, v37, v42 offset0:104 offset1:156
	ds_write2_b32 v28, v13, v36 offset0:80 offset1:132
	ds_write_b32 v26, v38 offset:1248
	s_and_saveexec_b32 s1, s0
	s_cbranch_execz .LBB0_23
; %bb.22:
	v_add_f32_e32 v0, v21, v31
	v_add_f32_e32 v13, v22, v24
	;; [unrolled: 1-line block ×3, first 2 shown]
	v_sub_f32_e32 v16, v17, v16
	v_sub_f32_e32 v17, v33, v18
	;; [unrolled: 1-line block ×3, first 2 shown]
	v_add_f32_e32 v18, v13, v0
	v_sub_f32_e32 v22, v13, v0
	v_sub_f32_e32 v0, v0, v1
	;; [unrolled: 1-line block ×3, first 2 shown]
	v_add_f32_e32 v23, v17, v16
	v_add_f32_e32 v1, v1, v18
	v_sub_f32_e32 v18, v17, v16
	v_sub_f32_e32 v16, v16, v21
	;; [unrolled: 1-line block ×3, first 2 shown]
	v_add_f32_e32 v21, v23, v21
	v_add_f32_e32 v19, v19, v1
	v_mul_f32_e32 v0, 0x3f4a47b2, v0
	v_mul_f32_e32 v23, 0x3d64c772, v13
	v_mul_f32_e32 v18, 0xbf08b237, v18
	v_mul_f32_e32 v24, 0x3f5ff5aa, v16
	v_fmamk_f32 v1, v1, 0xbf955555, v19
	v_fmamk_f32 v13, v13, 0x3d64c772, v0
	v_fma_f32 v23, 0x3f3bfb3b, v22, -v23
	v_fma_f32 v0, 0xbf3bfb3b, v22, -v0
	v_fmamk_f32 v22, v17, 0x3eae86e6, v18
	v_fma_f32 v16, 0x3f5ff5aa, v16, -v18
	v_fma_f32 v17, 0xbeae86e6, v17, -v24
	v_add_f32_e32 v13, v13, v1
	v_add_f32_e32 v18, v23, v1
	v_fmac_f32_e32 v22, 0x3ee1c552, v21
	v_fmac_f32_e32 v16, 0x3ee1c552, v21
	v_add_f32_e32 v0, v0, v1
	v_fmac_f32_e32 v17, 0x3ee1c552, v21
	v_sub_f32_e32 v1, v13, v22
	v_add_f32_e32 v23, v16, v18
	v_sub_f32_e32 v16, v18, v16
	v_add_nc_u32_e32 v18, 0x1000, v25
	v_sub_f32_e32 v21, v0, v17
	v_add_f32_e32 v0, v17, v0
	v_add_nc_u32_e32 v17, 0x1400, v25
	v_add_f32_e32 v13, v22, v13
	ds_write2_b32 v18, v19, v1 offset0:68 offset1:120
	ds_write2_b32 v18, v21, v23 offset0:172 offset1:224
	;; [unrolled: 1-line block ×3, first 2 shown]
	ds_write_b32 v25, v13 offset:5616
.LBB0_23:
	s_or_b32 exec_lo, exec_lo, s1
	v_mov_b32_e32 v13, 0
	s_waitcnt lgkmcnt(0)
	s_barrier
	buffer_gl0_inv
	v_lshlrev_b64 v[0:1], 3, v[12:13]
	v_add_co_u32 v18, s0, s12, v0
	v_add_co_ci_u32_e64 v19, s0, s13, v1, s0
	v_add_co_u32 v21, s0, 0x800, v18
	v_add_co_ci_u32_e64 v22, s0, 0, v19, s0
	;; [unrolled: 2-line block ×3, first 2 shown]
	s_clause 0x1
	global_load_dwordx2 v[21:22], v[21:22], off offset:760
	global_load_dwordx2 v[23:24], v[16:17], off offset:168
	ds_read2_b32 v[25:26], v20 offset0:24 offset1:206
	ds_read2_b32 v[31:32], v29 offset0:68 offset1:250
	ds_read2_b32 v[33:34], v30 offset1:182
	ds_read2_b32 v[35:36], v27 offset0:44 offset1:226
	s_waitcnt vmcnt(0) lgkmcnt(0)
	s_barrier
	buffer_gl0_inv
	v_mul_f32_e32 v28, v25, v22
	v_mul_f32_e32 v38, v26, v24
	;; [unrolled: 1-line block ×6, first 2 shown]
	v_fma_f32 v6, v6, v21, -v28
	v_fma_f32 v7, v7, v23, -v38
	v_mul_f32_e32 v22, v14, v22
	v_mul_f32_e32 v24, v15, v24
	v_fma_f32 v14, v14, v21, -v40
	v_fma_f32 v15, v15, v23, -v41
	v_sub_f32_e32 v6, v2, v6
	v_sub_f32_e32 v7, v3, v7
	v_fmac_f32_e32 v37, v25, v21
	v_sub_f32_e32 v14, v4, v14
	v_sub_f32_e32 v15, v5, v15
	v_fma_f32 v2, v2, 2.0, -v6
	v_fma_f32 v3, v3, 2.0, -v7
	v_fmac_f32_e32 v39, v26, v23
	v_fma_f32 v4, v4, 2.0, -v14
	v_fma_f32 v5, v5, 2.0, -v15
	ds_write2_b32 v27, v6, v7 offset0:44 offset1:226
	ds_write2_b32 v29, v14, v15 offset0:68 offset1:250
	ds_write2_b32 v30, v2, v3 offset1:182
	ds_write2_b32 v20, v4, v5 offset0:24 offset1:206
	s_waitcnt lgkmcnt(0)
	s_barrier
	buffer_gl0_inv
	ds_read2_b32 v[2:3], v30 offset1:182
	ds_read2_b32 v[6:7], v20 offset0:24 offset1:206
	ds_read2_b32 v[4:5], v27 offset0:44 offset1:226
	;; [unrolled: 1-line block ×3, first 2 shown]
	v_fmac_f32_e32 v22, v31, v21
	v_fmac_f32_e32 v24, v32, v23
	v_sub_f32_e32 v21, v33, v37
	v_sub_f32_e32 v23, v34, v39
	s_waitcnt lgkmcnt(0)
	v_sub_f32_e32 v22, v35, v22
	v_sub_f32_e32 v24, v36, v24
	v_fma_f32 v25, v33, 2.0, -v21
	v_fma_f32 v26, v34, 2.0, -v23
	s_barrier
	v_fma_f32 v28, v35, 2.0, -v22
	v_fma_f32 v31, v36, 2.0, -v24
	buffer_gl0_inv
	ds_write2_b32 v30, v25, v26 offset1:182
	ds_write2_b32 v27, v21, v23 offset0:44 offset1:226
	ds_write2_b32 v20, v28, v31 offset0:24 offset1:206
	;; [unrolled: 1-line block ×3, first 2 shown]
	s_waitcnt lgkmcnt(0)
	s_barrier
	buffer_gl0_inv
	s_and_saveexec_b32 s0, vcc_lo
	s_cbranch_execz .LBB0_25
; %bb.24:
	v_add_co_u32 v20, vcc_lo, 0x2000, v18
	v_add_co_ci_u32_e32 v21, vcc_lo, 0, v19, vcc_lo
	v_add_co_u32 v22, vcc_lo, 0x5b0, v18
	v_add_co_ci_u32_e32 v23, vcc_lo, 0, v19, vcc_lo
	global_load_dwordx2 v[18:19], v[20:21], off offset:1896
	v_add_co_u32 v22, vcc_lo, 0x1000, v22
	v_add_co_ci_u32_e32 v23, vcc_lo, 0, v23, vcc_lo
	v_mul_lo_u32 v26, s3, v10
	v_mul_lo_u32 v27, s2, v11
	s_clause 0x2
	global_load_dwordx2 v[22:23], v[22:23], off offset:1624
	global_load_dwordx2 v[20:21], v[20:21], off offset:440
	;; [unrolled: 1-line block ×3, first 2 shown]
	v_mad_u64_u32 v[10:11], null, s2, v10, 0
	v_add_nc_u32_e32 v32, 0x222, v12
	v_add_nc_u32_e32 v12, 0x16c, v12
	;; [unrolled: 1-line block ×4, first 2 shown]
	ds_read2_b32 v[24:25], v30 offset1:182
	v_lshrrev_b32_e32 v31, 3, v32
	v_lshrrev_b32_e32 v29, 3, v12
	v_add3_u32 v11, v11, v27, v26
	v_add_nc_u32_e32 v30, 0xb00, v30
	ds_read2_b32 v[26:27], v28 offset0:44 offset1:226
	v_mul_hi_u32 v35, 0x16816817, v31
	v_mul_hi_u32 v34, 0x16816817, v29
	v_lshlrev_b64 v[10:11], 3, v[10:11]
	ds_read2_b32 v[28:29], v33 offset0:68 offset1:250
	ds_read2_b32 v[30:31], v30 offset0:24 offset1:206
	v_lshlrev_b64 v[8:9], 3, v[8:9]
	v_add_co_u32 v10, vcc_lo, s10, v10
	v_lshrrev_b32_e32 v33, 3, v34
	v_add_co_ci_u32_e32 v11, vcc_lo, s11, v11, vcc_lo
	v_lshrrev_b32_e32 v34, 3, v35
	v_add_co_u32 v36, vcc_lo, v10, v8
	v_mad_u32_u24 v12, 0x2d8, v33, v12
	v_add_co_ci_u32_e32 v37, vcc_lo, v11, v9, vcc_lo
	v_add_co_u32 v0, vcc_lo, v36, v0
	v_lshlrev_b64 v[8:9], 3, v[12:13]
	v_mad_u32_u24 v12, 0x2d8, v34, v32
	v_add_co_ci_u32_e32 v1, vcc_lo, v37, v1, vcc_lo
	v_lshlrev_b64 v[10:11], 3, v[12:13]
	v_add_co_u32 v12, vcc_lo, 0x1000, v0
	v_add_co_ci_u32_e32 v13, vcc_lo, 0, v1, vcc_lo
	v_add_co_u32 v8, vcc_lo, v36, v8
	v_add_co_ci_u32_e32 v9, vcc_lo, v37, v9, vcc_lo
	;; [unrolled: 2-line block ×6, first 2 shown]
	s_waitcnt vmcnt(3)
	v_mul_f32_e32 v38, v15, v19
	s_waitcnt lgkmcnt(1)
	v_mul_f32_e32 v19, v29, v19
	v_fmac_f32_e32 v38, v29, v18
	v_fma_f32 v15, v15, v18, -v19
	s_waitcnt vmcnt(1)
	v_mul_f32_e32 v19, v14, v21
	s_waitcnt vmcnt(0)
	v_mul_f32_e32 v39, v6, v17
	s_waitcnt lgkmcnt(0)
	v_mul_f32_e32 v40, v30, v17
	v_mul_f32_e32 v21, v28, v21
	;; [unrolled: 1-line block ×4, first 2 shown]
	v_fmac_f32_e32 v39, v30, v16
	v_fma_f32 v16, v6, v16, -v40
	v_fmac_f32_e32 v19, v28, v20
	v_fma_f32 v14, v14, v20, -v21
	;; [unrolled: 2-line block ×3, first 2 shown]
	v_sub_f32_e32 v22, v24, v39
	v_sub_f32_e32 v21, v2, v16
	v_sub_f32_e32 v18, v27, v38
	v_sub_f32_e32 v17, v5, v15
	v_sub_f32_e32 v15, v26, v19
	v_sub_f32_e32 v14, v4, v14
	v_sub_f32_e32 v20, v25, v29
	v_sub_f32_e32 v19, v3, v7
	v_fma_f32 v24, v24, 2.0, -v22
	v_fma_f32 v23, v2, 2.0, -v21
	;; [unrolled: 1-line block ×8, first 2 shown]
	global_store_dwordx2 v[12:13], v[21:22], off offset:1728
	global_store_dwordx2 v[32:33], v[19:20], off offset:1136
	;; [unrolled: 1-line block ×3, first 2 shown]
	global_store_dwordx2 v[0:1], v[23:24], off
	global_store_dwordx2 v[0:1], v[3:4], off offset:1456
	global_store_dwordx2 v[8:9], v[26:27], off
	global_store_dwordx2 v[10:11], v[5:6], off
	global_store_dwordx2 v[36:37], v[17:18], off offset:1728
.LBB0_25:
	s_endpgm
	.section	.rodata,"a",@progbits
	.p2align	6, 0x0
	.amdhsa_kernel fft_rtc_fwd_len1456_factors_13_4_7_2_2_wgs_182_tpt_182_halfLds_sp_op_CI_CI_unitstride_sbrr_dirReg
		.amdhsa_group_segment_fixed_size 0
		.amdhsa_private_segment_fixed_size 0
		.amdhsa_kernarg_size 104
		.amdhsa_user_sgpr_count 6
		.amdhsa_user_sgpr_private_segment_buffer 1
		.amdhsa_user_sgpr_dispatch_ptr 0
		.amdhsa_user_sgpr_queue_ptr 0
		.amdhsa_user_sgpr_kernarg_segment_ptr 1
		.amdhsa_user_sgpr_dispatch_id 0
		.amdhsa_user_sgpr_flat_scratch_init 0
		.amdhsa_user_sgpr_private_segment_size 0
		.amdhsa_wavefront_size32 1
		.amdhsa_uses_dynamic_stack 0
		.amdhsa_system_sgpr_private_segment_wavefront_offset 0
		.amdhsa_system_sgpr_workgroup_id_x 1
		.amdhsa_system_sgpr_workgroup_id_y 0
		.amdhsa_system_sgpr_workgroup_id_z 0
		.amdhsa_system_sgpr_workgroup_info 0
		.amdhsa_system_vgpr_workitem_id 0
		.amdhsa_next_free_vgpr 105
		.amdhsa_next_free_sgpr 27
		.amdhsa_reserve_vcc 1
		.amdhsa_reserve_flat_scratch 0
		.amdhsa_float_round_mode_32 0
		.amdhsa_float_round_mode_16_64 0
		.amdhsa_float_denorm_mode_32 3
		.amdhsa_float_denorm_mode_16_64 3
		.amdhsa_dx10_clamp 1
		.amdhsa_ieee_mode 1
		.amdhsa_fp16_overflow 0
		.amdhsa_workgroup_processor_mode 1
		.amdhsa_memory_ordered 1
		.amdhsa_forward_progress 0
		.amdhsa_shared_vgpr_count 0
		.amdhsa_exception_fp_ieee_invalid_op 0
		.amdhsa_exception_fp_denorm_src 0
		.amdhsa_exception_fp_ieee_div_zero 0
		.amdhsa_exception_fp_ieee_overflow 0
		.amdhsa_exception_fp_ieee_underflow 0
		.amdhsa_exception_fp_ieee_inexact 0
		.amdhsa_exception_int_div_zero 0
	.end_amdhsa_kernel
	.text
.Lfunc_end0:
	.size	fft_rtc_fwd_len1456_factors_13_4_7_2_2_wgs_182_tpt_182_halfLds_sp_op_CI_CI_unitstride_sbrr_dirReg, .Lfunc_end0-fft_rtc_fwd_len1456_factors_13_4_7_2_2_wgs_182_tpt_182_halfLds_sp_op_CI_CI_unitstride_sbrr_dirReg
                                        ; -- End function
	.section	.AMDGPU.csdata,"",@progbits
; Kernel info:
; codeLenInByte = 8468
; NumSgprs: 29
; NumVgprs: 105
; ScratchSize: 0
; MemoryBound: 0
; FloatMode: 240
; IeeeMode: 1
; LDSByteSize: 0 bytes/workgroup (compile time only)
; SGPRBlocks: 3
; VGPRBlocks: 13
; NumSGPRsForWavesPerEU: 29
; NumVGPRsForWavesPerEU: 105
; Occupancy: 9
; WaveLimiterHint : 1
; COMPUTE_PGM_RSRC2:SCRATCH_EN: 0
; COMPUTE_PGM_RSRC2:USER_SGPR: 6
; COMPUTE_PGM_RSRC2:TRAP_HANDLER: 0
; COMPUTE_PGM_RSRC2:TGID_X_EN: 1
; COMPUTE_PGM_RSRC2:TGID_Y_EN: 0
; COMPUTE_PGM_RSRC2:TGID_Z_EN: 0
; COMPUTE_PGM_RSRC2:TIDIG_COMP_CNT: 0
	.text
	.p2alignl 6, 3214868480
	.fill 48, 4, 3214868480
	.type	__hip_cuid_cfe0177e359e770c,@object ; @__hip_cuid_cfe0177e359e770c
	.section	.bss,"aw",@nobits
	.globl	__hip_cuid_cfe0177e359e770c
__hip_cuid_cfe0177e359e770c:
	.byte	0                               ; 0x0
	.size	__hip_cuid_cfe0177e359e770c, 1

	.ident	"AMD clang version 19.0.0git (https://github.com/RadeonOpenCompute/llvm-project roc-6.4.0 25133 c7fe45cf4b819c5991fe208aaa96edf142730f1d)"
	.section	".note.GNU-stack","",@progbits
	.addrsig
	.addrsig_sym __hip_cuid_cfe0177e359e770c
	.amdgpu_metadata
---
amdhsa.kernels:
  - .args:
      - .actual_access:  read_only
        .address_space:  global
        .offset:         0
        .size:           8
        .value_kind:     global_buffer
      - .offset:         8
        .size:           8
        .value_kind:     by_value
      - .actual_access:  read_only
        .address_space:  global
        .offset:         16
        .size:           8
        .value_kind:     global_buffer
      - .actual_access:  read_only
        .address_space:  global
        .offset:         24
        .size:           8
        .value_kind:     global_buffer
      - .actual_access:  read_only
        .address_space:  global
        .offset:         32
        .size:           8
        .value_kind:     global_buffer
      - .offset:         40
        .size:           8
        .value_kind:     by_value
      - .actual_access:  read_only
        .address_space:  global
        .offset:         48
        .size:           8
        .value_kind:     global_buffer
      - .actual_access:  read_only
        .address_space:  global
        .offset:         56
        .size:           8
        .value_kind:     global_buffer
      - .offset:         64
        .size:           4
        .value_kind:     by_value
      - .actual_access:  read_only
        .address_space:  global
        .offset:         72
        .size:           8
        .value_kind:     global_buffer
      - .actual_access:  read_only
        .address_space:  global
        .offset:         80
        .size:           8
        .value_kind:     global_buffer
      - .actual_access:  read_only
        .address_space:  global
        .offset:         88
        .size:           8
        .value_kind:     global_buffer
      - .actual_access:  write_only
        .address_space:  global
        .offset:         96
        .size:           8
        .value_kind:     global_buffer
    .group_segment_fixed_size: 0
    .kernarg_segment_align: 8
    .kernarg_segment_size: 104
    .language:       OpenCL C
    .language_version:
      - 2
      - 0
    .max_flat_workgroup_size: 182
    .name:           fft_rtc_fwd_len1456_factors_13_4_7_2_2_wgs_182_tpt_182_halfLds_sp_op_CI_CI_unitstride_sbrr_dirReg
    .private_segment_fixed_size: 0
    .sgpr_count:     29
    .sgpr_spill_count: 0
    .symbol:         fft_rtc_fwd_len1456_factors_13_4_7_2_2_wgs_182_tpt_182_halfLds_sp_op_CI_CI_unitstride_sbrr_dirReg.kd
    .uniform_work_group_size: 1
    .uses_dynamic_stack: false
    .vgpr_count:     105
    .vgpr_spill_count: 0
    .wavefront_size: 32
    .workgroup_processor_mode: 1
amdhsa.target:   amdgcn-amd-amdhsa--gfx1030
amdhsa.version:
  - 1
  - 2
...

	.end_amdgpu_metadata
